;; amdgpu-corpus repo=LLNL/RAJAPerf kind=compiled arch=gfx1100 opt=O3
	.text
	.amdgcn_target "amdgcn-amd-amdhsa--gfx1100"
	.amdhsa_code_object_version 6
	.section	.text._ZN8rajaperf9polybench10poly_mvt_1ILm256EEEvPdS2_S2_l,"axG",@progbits,_ZN8rajaperf9polybench10poly_mvt_1ILm256EEEvPdS2_S2_l,comdat
	.protected	_ZN8rajaperf9polybench10poly_mvt_1ILm256EEEvPdS2_S2_l ; -- Begin function _ZN8rajaperf9polybench10poly_mvt_1ILm256EEEvPdS2_S2_l
	.globl	_ZN8rajaperf9polybench10poly_mvt_1ILm256EEEvPdS2_S2_l
	.p2align	8
	.type	_ZN8rajaperf9polybench10poly_mvt_1ILm256EEEvPdS2_S2_l,@function
_ZN8rajaperf9polybench10poly_mvt_1ILm256EEEvPdS2_S2_l: ; @_ZN8rajaperf9polybench10poly_mvt_1ILm256EEEvPdS2_S2_l
; %bb.0:
	s_load_b256 s[0:7], s[0:1], 0x0
	s_mov_b32 s8, s15
	s_mov_b32 s9, 0
	s_delay_alu instid0(SALU_CYCLE_1) | instskip(NEXT) | instid1(SALU_CYCLE_1)
	s_lshl_b64 s[8:9], s[8:9], 8
	v_or_b32_e32 v0, s8, v0
	v_mov_b32_e32 v1, s9
	s_mov_b32 s8, exec_lo
	s_waitcnt lgkmcnt(0)
	s_delay_alu instid0(VALU_DEP_1)
	v_cmpx_gt_i64_e64 s[6:7], v[0:1]
	s_cbranch_execz .LBB0_4
; %bb.1:
	v_mul_lo_u32 v4, v1, s6
	v_mul_lo_u32 v5, v0, s7
	v_mad_u64_u32 v[2:3], null, v0, s6, 0
	s_delay_alu instid0(VALU_DEP_1) | instskip(NEXT) | instid1(VALU_DEP_1)
	v_add3_u32 v3, v3, v5, v4
	v_lshlrev_b64 v[4:5], 3, v[2:3]
	v_mov_b32_e32 v2, 0
	v_mov_b32_e32 v3, 0
	s_delay_alu instid0(VALU_DEP_3) | instskip(NEXT) | instid1(VALU_DEP_4)
	v_add_co_u32 v4, vcc_lo, s0, v4
	v_add_co_ci_u32_e32 v5, vcc_lo, s1, v5, vcc_lo
.LBB0_2:                                ; =>This Inner Loop Header: Depth=1
	global_load_b64 v[6:7], v[4:5], off
	s_load_b64 s[0:1], s[4:5], 0x0
	v_add_co_u32 v4, vcc_lo, v4, 8
	s_add_u32 s6, s6, -1
	v_add_co_ci_u32_e32 v5, vcc_lo, 0, v5, vcc_lo
	s_addc_u32 s7, s7, -1
	s_add_u32 s4, s4, 8
	s_addc_u32 s5, s5, 0
	s_cmp_eq_u64 s[6:7], 0
	s_waitcnt vmcnt(0) lgkmcnt(0)
	v_fma_f64 v[2:3], v[6:7], s[0:1], v[2:3]
	s_cbranch_scc0 .LBB0_2
; %bb.3:
	v_lshlrev_b64 v[0:1], 3, v[0:1]
	s_delay_alu instid0(VALU_DEP_1) | instskip(NEXT) | instid1(VALU_DEP_2)
	v_add_co_u32 v0, vcc_lo, s2, v0
	v_add_co_ci_u32_e32 v1, vcc_lo, s3, v1, vcc_lo
	global_store_b64 v[0:1], v[2:3], off
.LBB0_4:
	s_nop 0
	s_sendmsg sendmsg(MSG_DEALLOC_VGPRS)
	s_endpgm
	.section	.rodata,"a",@progbits
	.p2align	6, 0x0
	.amdhsa_kernel _ZN8rajaperf9polybench10poly_mvt_1ILm256EEEvPdS2_S2_l
		.amdhsa_group_segment_fixed_size 0
		.amdhsa_private_segment_fixed_size 0
		.amdhsa_kernarg_size 32
		.amdhsa_user_sgpr_count 15
		.amdhsa_user_sgpr_dispatch_ptr 0
		.amdhsa_user_sgpr_queue_ptr 0
		.amdhsa_user_sgpr_kernarg_segment_ptr 1
		.amdhsa_user_sgpr_dispatch_id 0
		.amdhsa_user_sgpr_private_segment_size 0
		.amdhsa_wavefront_size32 1
		.amdhsa_uses_dynamic_stack 0
		.amdhsa_enable_private_segment 0
		.amdhsa_system_sgpr_workgroup_id_x 1
		.amdhsa_system_sgpr_workgroup_id_y 0
		.amdhsa_system_sgpr_workgroup_id_z 0
		.amdhsa_system_sgpr_workgroup_info 0
		.amdhsa_system_vgpr_workitem_id 0
		.amdhsa_next_free_vgpr 8
		.amdhsa_next_free_sgpr 16
		.amdhsa_reserve_vcc 1
		.amdhsa_float_round_mode_32 0
		.amdhsa_float_round_mode_16_64 0
		.amdhsa_float_denorm_mode_32 3
		.amdhsa_float_denorm_mode_16_64 3
		.amdhsa_dx10_clamp 1
		.amdhsa_ieee_mode 1
		.amdhsa_fp16_overflow 0
		.amdhsa_workgroup_processor_mode 1
		.amdhsa_memory_ordered 1
		.amdhsa_forward_progress 0
		.amdhsa_shared_vgpr_count 0
		.amdhsa_exception_fp_ieee_invalid_op 0
		.amdhsa_exception_fp_denorm_src 0
		.amdhsa_exception_fp_ieee_div_zero 0
		.amdhsa_exception_fp_ieee_overflow 0
		.amdhsa_exception_fp_ieee_underflow 0
		.amdhsa_exception_fp_ieee_inexact 0
		.amdhsa_exception_int_div_zero 0
	.end_amdhsa_kernel
	.section	.text._ZN8rajaperf9polybench10poly_mvt_1ILm256EEEvPdS2_S2_l,"axG",@progbits,_ZN8rajaperf9polybench10poly_mvt_1ILm256EEEvPdS2_S2_l,comdat
.Lfunc_end0:
	.size	_ZN8rajaperf9polybench10poly_mvt_1ILm256EEEvPdS2_S2_l, .Lfunc_end0-_ZN8rajaperf9polybench10poly_mvt_1ILm256EEEvPdS2_S2_l
                                        ; -- End function
	.section	.AMDGPU.csdata,"",@progbits
; Kernel info:
; codeLenInByte = 232
; NumSgprs: 18
; NumVgprs: 8
; ScratchSize: 0
; MemoryBound: 0
; FloatMode: 240
; IeeeMode: 1
; LDSByteSize: 0 bytes/workgroup (compile time only)
; SGPRBlocks: 2
; VGPRBlocks: 0
; NumSGPRsForWavesPerEU: 18
; NumVGPRsForWavesPerEU: 8
; Occupancy: 16
; WaveLimiterHint : 0
; COMPUTE_PGM_RSRC2:SCRATCH_EN: 0
; COMPUTE_PGM_RSRC2:USER_SGPR: 15
; COMPUTE_PGM_RSRC2:TRAP_HANDLER: 0
; COMPUTE_PGM_RSRC2:TGID_X_EN: 1
; COMPUTE_PGM_RSRC2:TGID_Y_EN: 0
; COMPUTE_PGM_RSRC2:TGID_Z_EN: 0
; COMPUTE_PGM_RSRC2:TIDIG_COMP_CNT: 0
	.section	.text._ZN8rajaperf9polybench10poly_mvt_2ILm256EEEvPdS2_S2_l,"axG",@progbits,_ZN8rajaperf9polybench10poly_mvt_2ILm256EEEvPdS2_S2_l,comdat
	.protected	_ZN8rajaperf9polybench10poly_mvt_2ILm256EEEvPdS2_S2_l ; -- Begin function _ZN8rajaperf9polybench10poly_mvt_2ILm256EEEvPdS2_S2_l
	.globl	_ZN8rajaperf9polybench10poly_mvt_2ILm256EEEvPdS2_S2_l
	.p2align	8
	.type	_ZN8rajaperf9polybench10poly_mvt_2ILm256EEEvPdS2_S2_l,@function
_ZN8rajaperf9polybench10poly_mvt_2ILm256EEEvPdS2_S2_l: ; @_ZN8rajaperf9polybench10poly_mvt_2ILm256EEEvPdS2_S2_l
; %bb.0:
	s_load_b256 s[0:7], s[0:1], 0x0
	s_mov_b32 s8, s15
	s_mov_b32 s9, 0
	s_delay_alu instid0(SALU_CYCLE_1) | instskip(NEXT) | instid1(SALU_CYCLE_1)
	s_lshl_b64 s[8:9], s[8:9], 8
	v_or_b32_e32 v0, s8, v0
	v_mov_b32_e32 v1, s9
	s_mov_b32 s8, exec_lo
	s_waitcnt lgkmcnt(0)
	s_delay_alu instid0(VALU_DEP_1)
	v_cmpx_gt_i64_e64 s[6:7], v[0:1]
	s_cbranch_execz .LBB1_4
; %bb.1:
	v_lshlrev_b64 v[0:1], 3, v[0:1]
	s_delay_alu instid0(VALU_DEP_1) | instskip(NEXT) | instid1(VALU_DEP_2)
	v_add_co_u32 v2, vcc_lo, s4, v0
	v_add_co_ci_u32_e32 v3, vcc_lo, s5, v1, vcc_lo
	v_add_co_u32 v6, vcc_lo, s0, v0
	v_add_co_ci_u32_e32 v7, vcc_lo, s1, v1, vcc_lo
	global_load_b64 v[4:5], v[2:3], off
	v_mov_b32_e32 v2, 0
	v_mov_b32_e32 v3, 0
	s_lshl_b64 s[0:1], s[6:7], 3
.LBB1_2:                                ; =>This Inner Loop Header: Depth=1
	global_load_b64 v[8:9], v[6:7], off
	v_add_co_u32 v6, vcc_lo, v6, s0
	s_add_u32 s6, s6, -1
	v_add_co_ci_u32_e32 v7, vcc_lo, s1, v7, vcc_lo
	s_addc_u32 s7, s7, -1
	s_delay_alu instid0(SALU_CYCLE_1)
	s_cmp_eq_u64 s[6:7], 0
	s_waitcnt vmcnt(0)
	v_fma_f64 v[2:3], v[8:9], v[4:5], v[2:3]
	s_cbranch_scc0 .LBB1_2
; %bb.3:
	v_add_co_u32 v0, vcc_lo, s2, v0
	v_add_co_ci_u32_e32 v1, vcc_lo, s3, v1, vcc_lo
	global_store_b64 v[0:1], v[2:3], off
.LBB1_4:
	s_nop 0
	s_sendmsg sendmsg(MSG_DEALLOC_VGPRS)
	s_endpgm
	.section	.rodata,"a",@progbits
	.p2align	6, 0x0
	.amdhsa_kernel _ZN8rajaperf9polybench10poly_mvt_2ILm256EEEvPdS2_S2_l
		.amdhsa_group_segment_fixed_size 0
		.amdhsa_private_segment_fixed_size 0
		.amdhsa_kernarg_size 32
		.amdhsa_user_sgpr_count 15
		.amdhsa_user_sgpr_dispatch_ptr 0
		.amdhsa_user_sgpr_queue_ptr 0
		.amdhsa_user_sgpr_kernarg_segment_ptr 1
		.amdhsa_user_sgpr_dispatch_id 0
		.amdhsa_user_sgpr_private_segment_size 0
		.amdhsa_wavefront_size32 1
		.amdhsa_uses_dynamic_stack 0
		.amdhsa_enable_private_segment 0
		.amdhsa_system_sgpr_workgroup_id_x 1
		.amdhsa_system_sgpr_workgroup_id_y 0
		.amdhsa_system_sgpr_workgroup_id_z 0
		.amdhsa_system_sgpr_workgroup_info 0
		.amdhsa_system_vgpr_workitem_id 0
		.amdhsa_next_free_vgpr 10
		.amdhsa_next_free_sgpr 16
		.amdhsa_reserve_vcc 1
		.amdhsa_float_round_mode_32 0
		.amdhsa_float_round_mode_16_64 0
		.amdhsa_float_denorm_mode_32 3
		.amdhsa_float_denorm_mode_16_64 3
		.amdhsa_dx10_clamp 1
		.amdhsa_ieee_mode 1
		.amdhsa_fp16_overflow 0
		.amdhsa_workgroup_processor_mode 1
		.amdhsa_memory_ordered 1
		.amdhsa_forward_progress 0
		.amdhsa_shared_vgpr_count 0
		.amdhsa_exception_fp_ieee_invalid_op 0
		.amdhsa_exception_fp_denorm_src 0
		.amdhsa_exception_fp_ieee_div_zero 0
		.amdhsa_exception_fp_ieee_overflow 0
		.amdhsa_exception_fp_ieee_underflow 0
		.amdhsa_exception_fp_ieee_inexact 0
		.amdhsa_exception_int_div_zero 0
	.end_amdhsa_kernel
	.section	.text._ZN8rajaperf9polybench10poly_mvt_2ILm256EEEvPdS2_S2_l,"axG",@progbits,_ZN8rajaperf9polybench10poly_mvt_2ILm256EEEvPdS2_S2_l,comdat
.Lfunc_end1:
	.size	_ZN8rajaperf9polybench10poly_mvt_2ILm256EEEvPdS2_S2_l, .Lfunc_end1-_ZN8rajaperf9polybench10poly_mvt_2ILm256EEEvPdS2_S2_l
                                        ; -- End function
	.section	.AMDGPU.csdata,"",@progbits
; Kernel info:
; codeLenInByte = 196
; NumSgprs: 18
; NumVgprs: 10
; ScratchSize: 0
; MemoryBound: 0
; FloatMode: 240
; IeeeMode: 1
; LDSByteSize: 0 bytes/workgroup (compile time only)
; SGPRBlocks: 2
; VGPRBlocks: 1
; NumSGPRsForWavesPerEU: 18
; NumVGPRsForWavesPerEU: 10
; Occupancy: 16
; WaveLimiterHint : 0
; COMPUTE_PGM_RSRC2:SCRATCH_EN: 0
; COMPUTE_PGM_RSRC2:USER_SGPR: 15
; COMPUTE_PGM_RSRC2:TRAP_HANDLER: 0
; COMPUTE_PGM_RSRC2:TGID_X_EN: 1
; COMPUTE_PGM_RSRC2:TGID_Y_EN: 0
; COMPUTE_PGM_RSRC2:TGID_Z_EN: 0
; COMPUTE_PGM_RSRC2:TIDIG_COMP_CNT: 0
	.section	.text._ZN4RAJA8internal22HipKernelLauncherFixedILi256ENS0_8LoopDataIN4camp5tupleIJNS_4SpanINS_9Iterators16numeric_iteratorIllPlEElEESA_EEENS4_IJdEEENS3_9resources2v13HipEJZZN8rajaperf9polybench13POLYBENCH_MVT17runHipVariantImplILm256EEEvNSG_9VariantIDEENKUlvE_clEvEUlRdE_ZZNSJ_ILm256EEEvSK_ENKSL_clEvEUlllSM_E_ZZNSJ_ILm256EEEvSK_ENKSL_clEvEUllSM_E_EEENS0_24HipStatementListExecutorISQ_NS3_4listIJNS_9statement3ForILl0ENS_6policy3hip11hip_indexerINS_17iteration_mapping6DirectELNS_23kernel_sync_requirementE0EJNS_3hip11IndexGlobalILNS_9named_dimE0ELi256ELi0EEEEEEJNST_6LambdaILl0EJNSS_IJNS0_9LambdaArgINS0_18lambda_arg_param_tELl0EEEEEEEEENSU_ILl1ENSV_10sequential8seq_execEJNS16_ILl1EJNSS_IJNS17_INS0_16lambda_arg_seg_tELl0EEENS17_IS1E_Ll1EEEEEES1A_EEEEEENS16_ILl2EJNSS_IJS1F_EEES1A_EEEEEEEEENS0_9LoopTypesINSS_IJvvEEES1P_EEEEEEvT0_,"axG",@progbits,_ZN4RAJA8internal22HipKernelLauncherFixedILi256ENS0_8LoopDataIN4camp5tupleIJNS_4SpanINS_9Iterators16numeric_iteratorIllPlEElEESA_EEENS4_IJdEEENS3_9resources2v13HipEJZZN8rajaperf9polybench13POLYBENCH_MVT17runHipVariantImplILm256EEEvNSG_9VariantIDEENKUlvE_clEvEUlRdE_ZZNSJ_ILm256EEEvSK_ENKSL_clEvEUlllSM_E_ZZNSJ_ILm256EEEvSK_ENKSL_clEvEUllSM_E_EEENS0_24HipStatementListExecutorISQ_NS3_4listIJNS_9statement3ForILl0ENS_6policy3hip11hip_indexerINS_17iteration_mapping6DirectELNS_23kernel_sync_requirementE0EJNS_3hip11IndexGlobalILNS_9named_dimE0ELi256ELi0EEEEEEJNST_6LambdaILl0EJNSS_IJNS0_9LambdaArgINS0_18lambda_arg_param_tELl0EEEEEEEEENSU_ILl1ENSV_10sequential8seq_execEJNS16_ILl1EJNSS_IJNS17_INS0_16lambda_arg_seg_tELl0EEENS17_IS1E_Ll1EEEEEES1A_EEEEEENS16_ILl2EJNSS_IJS1F_EEES1A_EEEEEEEEENS0_9LoopTypesINSS_IJvvEEES1P_EEEEEEvT0_,comdat
	.protected	_ZN4RAJA8internal22HipKernelLauncherFixedILi256ENS0_8LoopDataIN4camp5tupleIJNS_4SpanINS_9Iterators16numeric_iteratorIllPlEElEESA_EEENS4_IJdEEENS3_9resources2v13HipEJZZN8rajaperf9polybench13POLYBENCH_MVT17runHipVariantImplILm256EEEvNSG_9VariantIDEENKUlvE_clEvEUlRdE_ZZNSJ_ILm256EEEvSK_ENKSL_clEvEUlllSM_E_ZZNSJ_ILm256EEEvSK_ENKSL_clEvEUllSM_E_EEENS0_24HipStatementListExecutorISQ_NS3_4listIJNS_9statement3ForILl0ENS_6policy3hip11hip_indexerINS_17iteration_mapping6DirectELNS_23kernel_sync_requirementE0EJNS_3hip11IndexGlobalILNS_9named_dimE0ELi256ELi0EEEEEEJNST_6LambdaILl0EJNSS_IJNS0_9LambdaArgINS0_18lambda_arg_param_tELl0EEEEEEEEENSU_ILl1ENSV_10sequential8seq_execEJNS16_ILl1EJNSS_IJNS17_INS0_16lambda_arg_seg_tELl0EEENS17_IS1E_Ll1EEEEEES1A_EEEEEENS16_ILl2EJNSS_IJS1F_EEES1A_EEEEEEEEENS0_9LoopTypesINSS_IJvvEEES1P_EEEEEEvT0_ ; -- Begin function _ZN4RAJA8internal22HipKernelLauncherFixedILi256ENS0_8LoopDataIN4camp5tupleIJNS_4SpanINS_9Iterators16numeric_iteratorIllPlEElEESA_EEENS4_IJdEEENS3_9resources2v13HipEJZZN8rajaperf9polybench13POLYBENCH_MVT17runHipVariantImplILm256EEEvNSG_9VariantIDEENKUlvE_clEvEUlRdE_ZZNSJ_ILm256EEEvSK_ENKSL_clEvEUlllSM_E_ZZNSJ_ILm256EEEvSK_ENKSL_clEvEUllSM_E_EEENS0_24HipStatementListExecutorISQ_NS3_4listIJNS_9statement3ForILl0ENS_6policy3hip11hip_indexerINS_17iteration_mapping6DirectELNS_23kernel_sync_requirementE0EJNS_3hip11IndexGlobalILNS_9named_dimE0ELi256ELi0EEEEEEJNST_6LambdaILl0EJNSS_IJNS0_9LambdaArgINS0_18lambda_arg_param_tELl0EEEEEEEEENSU_ILl1ENSV_10sequential8seq_execEJNS16_ILl1EJNSS_IJNS17_INS0_16lambda_arg_seg_tELl0EEENS17_IS1E_Ll1EEEEEES1A_EEEEEENS16_ILl2EJNSS_IJS1F_EEES1A_EEEEEEEEENS0_9LoopTypesINSS_IJvvEEES1P_EEEEEEvT0_
	.globl	_ZN4RAJA8internal22HipKernelLauncherFixedILi256ENS0_8LoopDataIN4camp5tupleIJNS_4SpanINS_9Iterators16numeric_iteratorIllPlEElEESA_EEENS4_IJdEEENS3_9resources2v13HipEJZZN8rajaperf9polybench13POLYBENCH_MVT17runHipVariantImplILm256EEEvNSG_9VariantIDEENKUlvE_clEvEUlRdE_ZZNSJ_ILm256EEEvSK_ENKSL_clEvEUlllSM_E_ZZNSJ_ILm256EEEvSK_ENKSL_clEvEUllSM_E_EEENS0_24HipStatementListExecutorISQ_NS3_4listIJNS_9statement3ForILl0ENS_6policy3hip11hip_indexerINS_17iteration_mapping6DirectELNS_23kernel_sync_requirementE0EJNS_3hip11IndexGlobalILNS_9named_dimE0ELi256ELi0EEEEEEJNST_6LambdaILl0EJNSS_IJNS0_9LambdaArgINS0_18lambda_arg_param_tELl0EEEEEEEEENSU_ILl1ENSV_10sequential8seq_execEJNS16_ILl1EJNSS_IJNS17_INS0_16lambda_arg_seg_tELl0EEENS17_IS1E_Ll1EEEEEES1A_EEEEEENS16_ILl2EJNSS_IJS1F_EEES1A_EEEEEEEEENS0_9LoopTypesINSS_IJvvEEES1P_EEEEEEvT0_
	.p2align	8
	.type	_ZN4RAJA8internal22HipKernelLauncherFixedILi256ENS0_8LoopDataIN4camp5tupleIJNS_4SpanINS_9Iterators16numeric_iteratorIllPlEElEESA_EEENS4_IJdEEENS3_9resources2v13HipEJZZN8rajaperf9polybench13POLYBENCH_MVT17runHipVariantImplILm256EEEvNSG_9VariantIDEENKUlvE_clEvEUlRdE_ZZNSJ_ILm256EEEvSK_ENKSL_clEvEUlllSM_E_ZZNSJ_ILm256EEEvSK_ENKSL_clEvEUllSM_E_EEENS0_24HipStatementListExecutorISQ_NS3_4listIJNS_9statement3ForILl0ENS_6policy3hip11hip_indexerINS_17iteration_mapping6DirectELNS_23kernel_sync_requirementE0EJNS_3hip11IndexGlobalILNS_9named_dimE0ELi256ELi0EEEEEEJNST_6LambdaILl0EJNSS_IJNS0_9LambdaArgINS0_18lambda_arg_param_tELl0EEEEEEEEENSU_ILl1ENSV_10sequential8seq_execEJNS16_ILl1EJNSS_IJNS17_INS0_16lambda_arg_seg_tELl0EEENS17_IS1E_Ll1EEEEEES1A_EEEEEENS16_ILl2EJNSS_IJS1F_EEES1A_EEEEEEEEENS0_9LoopTypesINSS_IJvvEEES1P_EEEEEEvT0_,@function
_ZN4RAJA8internal22HipKernelLauncherFixedILi256ENS0_8LoopDataIN4camp5tupleIJNS_4SpanINS_9Iterators16numeric_iteratorIllPlEElEESA_EEENS4_IJdEEENS3_9resources2v13HipEJZZN8rajaperf9polybench13POLYBENCH_MVT17runHipVariantImplILm256EEEvNSG_9VariantIDEENKUlvE_clEvEUlRdE_ZZNSJ_ILm256EEEvSK_ENKSL_clEvEUlllSM_E_ZZNSJ_ILm256EEEvSK_ENKSL_clEvEUllSM_E_EEENS0_24HipStatementListExecutorISQ_NS3_4listIJNS_9statement3ForILl0ENS_6policy3hip11hip_indexerINS_17iteration_mapping6DirectELNS_23kernel_sync_requirementE0EJNS_3hip11IndexGlobalILNS_9named_dimE0ELi256ELi0EEEEEEJNST_6LambdaILl0EJNSS_IJNS0_9LambdaArgINS0_18lambda_arg_param_tELl0EEEEEEEEENSU_ILl1ENSV_10sequential8seq_execEJNS16_ILl1EJNSS_IJNS17_INS0_16lambda_arg_seg_tELl0EEENS17_IS1E_Ll1EEEEEES1A_EEEEEENS16_ILl2EJNSS_IJS1F_EEES1A_EEEEEEEEENS0_9LoopTypesINSS_IJvvEEES1P_EEEEEEvT0_: ; @_ZN4RAJA8internal22HipKernelLauncherFixedILi256ENS0_8LoopDataIN4camp5tupleIJNS_4SpanINS_9Iterators16numeric_iteratorIllPlEElEESA_EEENS4_IJdEEENS3_9resources2v13HipEJZZN8rajaperf9polybench13POLYBENCH_MVT17runHipVariantImplILm256EEEvNSG_9VariantIDEENKUlvE_clEvEUlRdE_ZZNSJ_ILm256EEEvSK_ENKSL_clEvEUlllSM_E_ZZNSJ_ILm256EEEvSK_ENKSL_clEvEUllSM_E_EEENS0_24HipStatementListExecutorISQ_NS3_4listIJNS_9statement3ForILl0ENS_6policy3hip11hip_indexerINS_17iteration_mapping6DirectELNS_23kernel_sync_requirementE0EJNS_3hip11IndexGlobalILNS_9named_dimE0ELi256ELi0EEEEEEJNST_6LambdaILl0EJNSS_IJNS0_9LambdaArgINS0_18lambda_arg_param_tELl0EEEEEEEEENSU_ILl1ENSV_10sequential8seq_execEJNS16_ILl1EJNSS_IJNS17_INS0_16lambda_arg_seg_tELl0EEENS17_IS1E_Ll1EEEEEES1A_EEEEEENS16_ILl2EJNSS_IJS1F_EEES1A_EEEEEEEEENS0_9LoopTypesINSS_IJvvEEES1P_EEEEEEvT0_
; %bb.0:
	s_mov_b32 s2, s15
	s_clause 0x1
	s_load_b256 s[4:11], s[0:1], 0x0
	s_load_b64 s[14:15], s[0:1], 0x20
	s_mov_b32 s3, 0
	s_load_b64 s[12:13], s[0:1], 0xa8
	s_waitcnt lgkmcnt(0)
	s_sub_u32 s16, s6, s4
	s_subb_u32 s17, s7, s5
	s_lshl_b64 s[2:3], s[2:3], 8
	s_sub_u32 s6, s10, s8
	v_or_b32_e32 v0, s2, v0
	v_mov_b32_e32 v1, s3
	s_subb_u32 s7, s11, s9
	s_delay_alu instid0(SALU_CYCLE_1) | instskip(NEXT) | instid1(VALU_DEP_2)
	v_cmp_lt_i64_e64 s3, s[6:7], 1
	v_cmp_gt_i64_e64 s2, s[16:17], v[0:1]
	s_delay_alu instid0(VALU_DEP_2) | instskip(NEXT) | instid1(VALU_DEP_1)
	s_and_b32 vcc_lo, exec_lo, s3
	v_cndmask_b32_e64 v3, s15, 0, s2
	v_cndmask_b32_e64 v2, s14, 0, s2
	s_cbranch_vccnz .LBB2_5
; %bb.1:
	s_clause 0x1
	s_load_b64 s[10:11], s[0:1], 0x50
	s_load_b64 s[14:15], s[0:1], 0x38
	v_add_co_u32 v6, vcc_lo, s4, v0
	v_add_co_ci_u32_e32 v4, vcc_lo, s5, v1, vcc_lo
	s_load_b64 s[0:1], s[0:1], 0x80
	s_lshl_b64 s[8:9], s[8:9], 3
	s_waitcnt lgkmcnt(0)
	v_mul_lo_u32 v7, s11, v6
	v_mul_lo_u32 v8, s10, v4
	v_mad_u64_u32 v[4:5], null, s10, v6, 0
	s_add_u32 s3, s14, s8
	s_addc_u32 s10, s15, s9
	s_add_u32 s0, s0, s8
	s_addc_u32 s1, s1, s9
	s_mov_b64 s[8:9], 0
	s_delay_alu instid0(VALU_DEP_1) | instskip(NEXT) | instid1(VALU_DEP_1)
	v_add3_u32 v5, v5, v8, v7
	v_lshlrev_b64 v[4:5], 3, v[4:5]
	s_delay_alu instid0(VALU_DEP_1) | instskip(NEXT) | instid1(VALU_DEP_2)
	v_add_co_u32 v4, vcc_lo, s3, v4
	v_add_co_ci_u32_e32 v5, vcc_lo, s10, v5, vcc_lo
	s_branch .LBB2_3
	.p2align	6
.LBB2_2:                                ;   in Loop: Header=BB2_3 Depth=1
	s_or_b32 exec_lo, exec_lo, s3
	s_add_u32 s8, s8, 1
	s_addc_u32 s9, s9, 0
	v_add_co_u32 v4, vcc_lo, v4, 8
	v_cmp_lt_i64_e64 s3, s[8:9], s[6:7]
	v_add_co_ci_u32_e32 v5, vcc_lo, 0, v5, vcc_lo
	s_add_u32 s0, s0, 8
	s_addc_u32 s1, s1, 0
	s_delay_alu instid0(VALU_DEP_2)
	s_and_b32 vcc_lo, exec_lo, s3
	s_cbranch_vccz .LBB2_5
.LBB2_3:                                ; =>This Inner Loop Header: Depth=1
	s_and_saveexec_b32 s3, s2
	s_cbranch_execz .LBB2_2
; %bb.4:                                ;   in Loop: Header=BB2_3 Depth=1
	global_load_b64 v[6:7], v[4:5], off
	s_load_b64 s[10:11], s[0:1], 0x0
	s_waitcnt vmcnt(0) lgkmcnt(0)
	v_fma_f64 v[2:3], v[6:7], s[10:11], v[2:3]
	s_branch .LBB2_2
.LBB2_5:
	s_and_saveexec_b32 s0, s2
	s_cbranch_execz .LBB2_7
; %bb.6:
	v_lshlrev_b64 v[0:1], 3, v[0:1]
	s_lshl_b64 s[0:1], s[4:5], 3
	s_delay_alu instid0(SALU_CYCLE_1) | instskip(SKIP_1) | instid1(VALU_DEP_1)
	s_add_u32 s0, s0, s12
	s_addc_u32 s1, s1, s13
	v_add_co_u32 v0, vcc_lo, s0, v0
	s_delay_alu instid0(VALU_DEP_2)
	v_add_co_ci_u32_e32 v1, vcc_lo, s1, v1, vcc_lo
	global_store_b64 v[0:1], v[2:3], off
.LBB2_7:
	s_nop 0
	s_sendmsg sendmsg(MSG_DEALLOC_VGPRS)
	s_endpgm
	.section	.rodata,"a",@progbits
	.p2align	6, 0x0
	.amdhsa_kernel _ZN4RAJA8internal22HipKernelLauncherFixedILi256ENS0_8LoopDataIN4camp5tupleIJNS_4SpanINS_9Iterators16numeric_iteratorIllPlEElEESA_EEENS4_IJdEEENS3_9resources2v13HipEJZZN8rajaperf9polybench13POLYBENCH_MVT17runHipVariantImplILm256EEEvNSG_9VariantIDEENKUlvE_clEvEUlRdE_ZZNSJ_ILm256EEEvSK_ENKSL_clEvEUlllSM_E_ZZNSJ_ILm256EEEvSK_ENKSL_clEvEUllSM_E_EEENS0_24HipStatementListExecutorISQ_NS3_4listIJNS_9statement3ForILl0ENS_6policy3hip11hip_indexerINS_17iteration_mapping6DirectELNS_23kernel_sync_requirementE0EJNS_3hip11IndexGlobalILNS_9named_dimE0ELi256ELi0EEEEEEJNST_6LambdaILl0EJNSS_IJNS0_9LambdaArgINS0_18lambda_arg_param_tELl0EEEEEEEEENSU_ILl1ENSV_10sequential8seq_execEJNS16_ILl1EJNSS_IJNS17_INS0_16lambda_arg_seg_tELl0EEENS17_IS1E_Ll1EEEEEES1A_EEEEEENS16_ILl2EJNSS_IJS1F_EEES1A_EEEEEEEEENS0_9LoopTypesINSS_IJvvEEES1P_EEEEEEvT0_
		.amdhsa_group_segment_fixed_size 0
		.amdhsa_private_segment_fixed_size 0
		.amdhsa_kernarg_size 232
		.amdhsa_user_sgpr_count 15
		.amdhsa_user_sgpr_dispatch_ptr 0
		.amdhsa_user_sgpr_queue_ptr 0
		.amdhsa_user_sgpr_kernarg_segment_ptr 1
		.amdhsa_user_sgpr_dispatch_id 0
		.amdhsa_user_sgpr_private_segment_size 0
		.amdhsa_wavefront_size32 1
		.amdhsa_uses_dynamic_stack 0
		.amdhsa_enable_private_segment 0
		.amdhsa_system_sgpr_workgroup_id_x 1
		.amdhsa_system_sgpr_workgroup_id_y 0
		.amdhsa_system_sgpr_workgroup_id_z 0
		.amdhsa_system_sgpr_workgroup_info 0
		.amdhsa_system_vgpr_workitem_id 0
		.amdhsa_next_free_vgpr 9
		.amdhsa_next_free_sgpr 18
		.amdhsa_reserve_vcc 1
		.amdhsa_float_round_mode_32 0
		.amdhsa_float_round_mode_16_64 0
		.amdhsa_float_denorm_mode_32 3
		.amdhsa_float_denorm_mode_16_64 3
		.amdhsa_dx10_clamp 1
		.amdhsa_ieee_mode 1
		.amdhsa_fp16_overflow 0
		.amdhsa_workgroup_processor_mode 1
		.amdhsa_memory_ordered 1
		.amdhsa_forward_progress 0
		.amdhsa_shared_vgpr_count 0
		.amdhsa_exception_fp_ieee_invalid_op 0
		.amdhsa_exception_fp_denorm_src 0
		.amdhsa_exception_fp_ieee_div_zero 0
		.amdhsa_exception_fp_ieee_overflow 0
		.amdhsa_exception_fp_ieee_underflow 0
		.amdhsa_exception_fp_ieee_inexact 0
		.amdhsa_exception_int_div_zero 0
	.end_amdhsa_kernel
	.section	.text._ZN4RAJA8internal22HipKernelLauncherFixedILi256ENS0_8LoopDataIN4camp5tupleIJNS_4SpanINS_9Iterators16numeric_iteratorIllPlEElEESA_EEENS4_IJdEEENS3_9resources2v13HipEJZZN8rajaperf9polybench13POLYBENCH_MVT17runHipVariantImplILm256EEEvNSG_9VariantIDEENKUlvE_clEvEUlRdE_ZZNSJ_ILm256EEEvSK_ENKSL_clEvEUlllSM_E_ZZNSJ_ILm256EEEvSK_ENKSL_clEvEUllSM_E_EEENS0_24HipStatementListExecutorISQ_NS3_4listIJNS_9statement3ForILl0ENS_6policy3hip11hip_indexerINS_17iteration_mapping6DirectELNS_23kernel_sync_requirementE0EJNS_3hip11IndexGlobalILNS_9named_dimE0ELi256ELi0EEEEEEJNST_6LambdaILl0EJNSS_IJNS0_9LambdaArgINS0_18lambda_arg_param_tELl0EEEEEEEEENSU_ILl1ENSV_10sequential8seq_execEJNS16_ILl1EJNSS_IJNS17_INS0_16lambda_arg_seg_tELl0EEENS17_IS1E_Ll1EEEEEES1A_EEEEEENS16_ILl2EJNSS_IJS1F_EEES1A_EEEEEEEEENS0_9LoopTypesINSS_IJvvEEES1P_EEEEEEvT0_,"axG",@progbits,_ZN4RAJA8internal22HipKernelLauncherFixedILi256ENS0_8LoopDataIN4camp5tupleIJNS_4SpanINS_9Iterators16numeric_iteratorIllPlEElEESA_EEENS4_IJdEEENS3_9resources2v13HipEJZZN8rajaperf9polybench13POLYBENCH_MVT17runHipVariantImplILm256EEEvNSG_9VariantIDEENKUlvE_clEvEUlRdE_ZZNSJ_ILm256EEEvSK_ENKSL_clEvEUlllSM_E_ZZNSJ_ILm256EEEvSK_ENKSL_clEvEUllSM_E_EEENS0_24HipStatementListExecutorISQ_NS3_4listIJNS_9statement3ForILl0ENS_6policy3hip11hip_indexerINS_17iteration_mapping6DirectELNS_23kernel_sync_requirementE0EJNS_3hip11IndexGlobalILNS_9named_dimE0ELi256ELi0EEEEEEJNST_6LambdaILl0EJNSS_IJNS0_9LambdaArgINS0_18lambda_arg_param_tELl0EEEEEEEEENSU_ILl1ENSV_10sequential8seq_execEJNS16_ILl1EJNSS_IJNS17_INS0_16lambda_arg_seg_tELl0EEENS17_IS1E_Ll1EEEEEES1A_EEEEEENS16_ILl2EJNSS_IJS1F_EEES1A_EEEEEEEEENS0_9LoopTypesINSS_IJvvEEES1P_EEEEEEvT0_,comdat
.Lfunc_end2:
	.size	_ZN4RAJA8internal22HipKernelLauncherFixedILi256ENS0_8LoopDataIN4camp5tupleIJNS_4SpanINS_9Iterators16numeric_iteratorIllPlEElEESA_EEENS4_IJdEEENS3_9resources2v13HipEJZZN8rajaperf9polybench13POLYBENCH_MVT17runHipVariantImplILm256EEEvNSG_9VariantIDEENKUlvE_clEvEUlRdE_ZZNSJ_ILm256EEEvSK_ENKSL_clEvEUlllSM_E_ZZNSJ_ILm256EEEvSK_ENKSL_clEvEUllSM_E_EEENS0_24HipStatementListExecutorISQ_NS3_4listIJNS_9statement3ForILl0ENS_6policy3hip11hip_indexerINS_17iteration_mapping6DirectELNS_23kernel_sync_requirementE0EJNS_3hip11IndexGlobalILNS_9named_dimE0ELi256ELi0EEEEEEJNST_6LambdaILl0EJNSS_IJNS0_9LambdaArgINS0_18lambda_arg_param_tELl0EEEEEEEEENSU_ILl1ENSV_10sequential8seq_execEJNS16_ILl1EJNSS_IJNS17_INS0_16lambda_arg_seg_tELl0EEENS17_IS1E_Ll1EEEEEES1A_EEEEEENS16_ILl2EJNSS_IJS1F_EEES1A_EEEEEEEEENS0_9LoopTypesINSS_IJvvEEES1P_EEEEEEvT0_, .Lfunc_end2-_ZN4RAJA8internal22HipKernelLauncherFixedILi256ENS0_8LoopDataIN4camp5tupleIJNS_4SpanINS_9Iterators16numeric_iteratorIllPlEElEESA_EEENS4_IJdEEENS3_9resources2v13HipEJZZN8rajaperf9polybench13POLYBENCH_MVT17runHipVariantImplILm256EEEvNSG_9VariantIDEENKUlvE_clEvEUlRdE_ZZNSJ_ILm256EEEvSK_ENKSL_clEvEUlllSM_E_ZZNSJ_ILm256EEEvSK_ENKSL_clEvEUllSM_E_EEENS0_24HipStatementListExecutorISQ_NS3_4listIJNS_9statement3ForILl0ENS_6policy3hip11hip_indexerINS_17iteration_mapping6DirectELNS_23kernel_sync_requirementE0EJNS_3hip11IndexGlobalILNS_9named_dimE0ELi256ELi0EEEEEEJNST_6LambdaILl0EJNSS_IJNS0_9LambdaArgINS0_18lambda_arg_param_tELl0EEEEEEEEENSU_ILl1ENSV_10sequential8seq_execEJNS16_ILl1EJNSS_IJNS17_INS0_16lambda_arg_seg_tELl0EEENS17_IS1E_Ll1EEEEEES1A_EEEEEENS16_ILl2EJNSS_IJS1F_EEES1A_EEEEEEEEENS0_9LoopTypesINSS_IJvvEEES1P_EEEEEEvT0_
                                        ; -- End function
	.section	.AMDGPU.csdata,"",@progbits
; Kernel info:
; codeLenInByte = 408
; NumSgprs: 20
; NumVgprs: 9
; ScratchSize: 0
; MemoryBound: 1
; FloatMode: 240
; IeeeMode: 1
; LDSByteSize: 0 bytes/workgroup (compile time only)
; SGPRBlocks: 2
; VGPRBlocks: 1
; NumSGPRsForWavesPerEU: 20
; NumVGPRsForWavesPerEU: 9
; Occupancy: 16
; WaveLimiterHint : 0
; COMPUTE_PGM_RSRC2:SCRATCH_EN: 0
; COMPUTE_PGM_RSRC2:USER_SGPR: 15
; COMPUTE_PGM_RSRC2:TRAP_HANDLER: 0
; COMPUTE_PGM_RSRC2:TGID_X_EN: 1
; COMPUTE_PGM_RSRC2:TGID_Y_EN: 0
; COMPUTE_PGM_RSRC2:TGID_Z_EN: 0
; COMPUTE_PGM_RSRC2:TIDIG_COMP_CNT: 0
	.section	.text._ZN4RAJA8internal22HipKernelLauncherFixedILi256ENS0_8LoopDataIN4camp5tupleIJNS_4SpanINS_9Iterators16numeric_iteratorIllPlEElEESA_EEENS4_IJdEEENS3_9resources2v13HipEJZZN8rajaperf9polybench13POLYBENCH_MVT17runHipVariantImplILm256EEEvNSG_9VariantIDEENKUlvE_clEvEUlRdE0_ZZNSJ_ILm256EEEvSK_ENKSL_clEvEUlllSM_E0_ZZNSJ_ILm256EEEvSK_ENKSL_clEvEUllSM_E0_EEENS0_24HipStatementListExecutorISQ_NS3_4listIJNS_9statement3ForILl0ENS_6policy3hip11hip_indexerINS_17iteration_mapping6DirectELNS_23kernel_sync_requirementE0EJNS_3hip11IndexGlobalILNS_9named_dimE0ELi256ELi0EEEEEEJNST_6LambdaILl0EJNSS_IJNS0_9LambdaArgINS0_18lambda_arg_param_tELl0EEEEEEEEENSU_ILl1ENSV_10sequential8seq_execEJNS16_ILl1EJNSS_IJNS17_INS0_16lambda_arg_seg_tELl0EEENS17_IS1E_Ll1EEEEEES1A_EEEEEENS16_ILl2EJNSS_IJS1F_EEES1A_EEEEEEEEENS0_9LoopTypesINSS_IJvvEEES1P_EEEEEEvT0_,"axG",@progbits,_ZN4RAJA8internal22HipKernelLauncherFixedILi256ENS0_8LoopDataIN4camp5tupleIJNS_4SpanINS_9Iterators16numeric_iteratorIllPlEElEESA_EEENS4_IJdEEENS3_9resources2v13HipEJZZN8rajaperf9polybench13POLYBENCH_MVT17runHipVariantImplILm256EEEvNSG_9VariantIDEENKUlvE_clEvEUlRdE0_ZZNSJ_ILm256EEEvSK_ENKSL_clEvEUlllSM_E0_ZZNSJ_ILm256EEEvSK_ENKSL_clEvEUllSM_E0_EEENS0_24HipStatementListExecutorISQ_NS3_4listIJNS_9statement3ForILl0ENS_6policy3hip11hip_indexerINS_17iteration_mapping6DirectELNS_23kernel_sync_requirementE0EJNS_3hip11IndexGlobalILNS_9named_dimE0ELi256ELi0EEEEEEJNST_6LambdaILl0EJNSS_IJNS0_9LambdaArgINS0_18lambda_arg_param_tELl0EEEEEEEEENSU_ILl1ENSV_10sequential8seq_execEJNS16_ILl1EJNSS_IJNS17_INS0_16lambda_arg_seg_tELl0EEENS17_IS1E_Ll1EEEEEES1A_EEEEEENS16_ILl2EJNSS_IJS1F_EEES1A_EEEEEEEEENS0_9LoopTypesINSS_IJvvEEES1P_EEEEEEvT0_,comdat
	.protected	_ZN4RAJA8internal22HipKernelLauncherFixedILi256ENS0_8LoopDataIN4camp5tupleIJNS_4SpanINS_9Iterators16numeric_iteratorIllPlEElEESA_EEENS4_IJdEEENS3_9resources2v13HipEJZZN8rajaperf9polybench13POLYBENCH_MVT17runHipVariantImplILm256EEEvNSG_9VariantIDEENKUlvE_clEvEUlRdE0_ZZNSJ_ILm256EEEvSK_ENKSL_clEvEUlllSM_E0_ZZNSJ_ILm256EEEvSK_ENKSL_clEvEUllSM_E0_EEENS0_24HipStatementListExecutorISQ_NS3_4listIJNS_9statement3ForILl0ENS_6policy3hip11hip_indexerINS_17iteration_mapping6DirectELNS_23kernel_sync_requirementE0EJNS_3hip11IndexGlobalILNS_9named_dimE0ELi256ELi0EEEEEEJNST_6LambdaILl0EJNSS_IJNS0_9LambdaArgINS0_18lambda_arg_param_tELl0EEEEEEEEENSU_ILl1ENSV_10sequential8seq_execEJNS16_ILl1EJNSS_IJNS17_INS0_16lambda_arg_seg_tELl0EEENS17_IS1E_Ll1EEEEEES1A_EEEEEENS16_ILl2EJNSS_IJS1F_EEES1A_EEEEEEEEENS0_9LoopTypesINSS_IJvvEEES1P_EEEEEEvT0_ ; -- Begin function _ZN4RAJA8internal22HipKernelLauncherFixedILi256ENS0_8LoopDataIN4camp5tupleIJNS_4SpanINS_9Iterators16numeric_iteratorIllPlEElEESA_EEENS4_IJdEEENS3_9resources2v13HipEJZZN8rajaperf9polybench13POLYBENCH_MVT17runHipVariantImplILm256EEEvNSG_9VariantIDEENKUlvE_clEvEUlRdE0_ZZNSJ_ILm256EEEvSK_ENKSL_clEvEUlllSM_E0_ZZNSJ_ILm256EEEvSK_ENKSL_clEvEUllSM_E0_EEENS0_24HipStatementListExecutorISQ_NS3_4listIJNS_9statement3ForILl0ENS_6policy3hip11hip_indexerINS_17iteration_mapping6DirectELNS_23kernel_sync_requirementE0EJNS_3hip11IndexGlobalILNS_9named_dimE0ELi256ELi0EEEEEEJNST_6LambdaILl0EJNSS_IJNS0_9LambdaArgINS0_18lambda_arg_param_tELl0EEEEEEEEENSU_ILl1ENSV_10sequential8seq_execEJNS16_ILl1EJNSS_IJNS17_INS0_16lambda_arg_seg_tELl0EEENS17_IS1E_Ll1EEEEEES1A_EEEEEENS16_ILl2EJNSS_IJS1F_EEES1A_EEEEEEEEENS0_9LoopTypesINSS_IJvvEEES1P_EEEEEEvT0_
	.globl	_ZN4RAJA8internal22HipKernelLauncherFixedILi256ENS0_8LoopDataIN4camp5tupleIJNS_4SpanINS_9Iterators16numeric_iteratorIllPlEElEESA_EEENS4_IJdEEENS3_9resources2v13HipEJZZN8rajaperf9polybench13POLYBENCH_MVT17runHipVariantImplILm256EEEvNSG_9VariantIDEENKUlvE_clEvEUlRdE0_ZZNSJ_ILm256EEEvSK_ENKSL_clEvEUlllSM_E0_ZZNSJ_ILm256EEEvSK_ENKSL_clEvEUllSM_E0_EEENS0_24HipStatementListExecutorISQ_NS3_4listIJNS_9statement3ForILl0ENS_6policy3hip11hip_indexerINS_17iteration_mapping6DirectELNS_23kernel_sync_requirementE0EJNS_3hip11IndexGlobalILNS_9named_dimE0ELi256ELi0EEEEEEJNST_6LambdaILl0EJNSS_IJNS0_9LambdaArgINS0_18lambda_arg_param_tELl0EEEEEEEEENSU_ILl1ENSV_10sequential8seq_execEJNS16_ILl1EJNSS_IJNS17_INS0_16lambda_arg_seg_tELl0EEENS17_IS1E_Ll1EEEEEES1A_EEEEEENS16_ILl2EJNSS_IJS1F_EEES1A_EEEEEEEEENS0_9LoopTypesINSS_IJvvEEES1P_EEEEEEvT0_
	.p2align	8
	.type	_ZN4RAJA8internal22HipKernelLauncherFixedILi256ENS0_8LoopDataIN4camp5tupleIJNS_4SpanINS_9Iterators16numeric_iteratorIllPlEElEESA_EEENS4_IJdEEENS3_9resources2v13HipEJZZN8rajaperf9polybench13POLYBENCH_MVT17runHipVariantImplILm256EEEvNSG_9VariantIDEENKUlvE_clEvEUlRdE0_ZZNSJ_ILm256EEEvSK_ENKSL_clEvEUlllSM_E0_ZZNSJ_ILm256EEEvSK_ENKSL_clEvEUllSM_E0_EEENS0_24HipStatementListExecutorISQ_NS3_4listIJNS_9statement3ForILl0ENS_6policy3hip11hip_indexerINS_17iteration_mapping6DirectELNS_23kernel_sync_requirementE0EJNS_3hip11IndexGlobalILNS_9named_dimE0ELi256ELi0EEEEEEJNST_6LambdaILl0EJNSS_IJNS0_9LambdaArgINS0_18lambda_arg_param_tELl0EEEEEEEEENSU_ILl1ENSV_10sequential8seq_execEJNS16_ILl1EJNSS_IJNS17_INS0_16lambda_arg_seg_tELl0EEENS17_IS1E_Ll1EEEEEES1A_EEEEEENS16_ILl2EJNSS_IJS1F_EEES1A_EEEEEEEEENS0_9LoopTypesINSS_IJvvEEES1P_EEEEEEvT0_,@function
_ZN4RAJA8internal22HipKernelLauncherFixedILi256ENS0_8LoopDataIN4camp5tupleIJNS_4SpanINS_9Iterators16numeric_iteratorIllPlEElEESA_EEENS4_IJdEEENS3_9resources2v13HipEJZZN8rajaperf9polybench13POLYBENCH_MVT17runHipVariantImplILm256EEEvNSG_9VariantIDEENKUlvE_clEvEUlRdE0_ZZNSJ_ILm256EEEvSK_ENKSL_clEvEUlllSM_E0_ZZNSJ_ILm256EEEvSK_ENKSL_clEvEUllSM_E0_EEENS0_24HipStatementListExecutorISQ_NS3_4listIJNS_9statement3ForILl0ENS_6policy3hip11hip_indexerINS_17iteration_mapping6DirectELNS_23kernel_sync_requirementE0EJNS_3hip11IndexGlobalILNS_9named_dimE0ELi256ELi0EEEEEEJNST_6LambdaILl0EJNSS_IJNS0_9LambdaArgINS0_18lambda_arg_param_tELl0EEEEEEEEENSU_ILl1ENSV_10sequential8seq_execEJNS16_ILl1EJNSS_IJNS17_INS0_16lambda_arg_seg_tELl0EEENS17_IS1E_Ll1EEEEEES1A_EEEEEENS16_ILl2EJNSS_IJS1F_EEES1A_EEEEEEEEENS0_9LoopTypesINSS_IJvvEEES1P_EEEEEEvT0_: ; @_ZN4RAJA8internal22HipKernelLauncherFixedILi256ENS0_8LoopDataIN4camp5tupleIJNS_4SpanINS_9Iterators16numeric_iteratorIllPlEElEESA_EEENS4_IJdEEENS3_9resources2v13HipEJZZN8rajaperf9polybench13POLYBENCH_MVT17runHipVariantImplILm256EEEvNSG_9VariantIDEENKUlvE_clEvEUlRdE0_ZZNSJ_ILm256EEEvSK_ENKSL_clEvEUlllSM_E0_ZZNSJ_ILm256EEEvSK_ENKSL_clEvEUllSM_E0_EEENS0_24HipStatementListExecutorISQ_NS3_4listIJNS_9statement3ForILl0ENS_6policy3hip11hip_indexerINS_17iteration_mapping6DirectELNS_23kernel_sync_requirementE0EJNS_3hip11IndexGlobalILNS_9named_dimE0ELi256ELi0EEEEEEJNST_6LambdaILl0EJNSS_IJNS0_9LambdaArgINS0_18lambda_arg_param_tELl0EEEEEEEEENSU_ILl1ENSV_10sequential8seq_execEJNS16_ILl1EJNSS_IJNS17_INS0_16lambda_arg_seg_tELl0EEENS17_IS1E_Ll1EEEEEES1A_EEEEEENS16_ILl2EJNSS_IJS1F_EEES1A_EEEEEEEEENS0_9LoopTypesINSS_IJvvEEES1P_EEEEEEvT0_
; %bb.0:
	s_mov_b32 s2, s15
	s_clause 0x1
	s_load_b256 s[4:11], s[0:1], 0x0
	s_load_b64 s[14:15], s[0:1], 0x20
	s_mov_b32 s3, 0
	s_load_b64 s[12:13], s[0:1], 0xa8
	s_waitcnt lgkmcnt(0)
	s_sub_u32 s16, s6, s4
	s_subb_u32 s17, s7, s5
	s_lshl_b64 s[2:3], s[2:3], 8
	s_sub_u32 s6, s10, s8
	v_or_b32_e32 v0, s2, v0
	v_mov_b32_e32 v1, s3
	s_subb_u32 s7, s11, s9
	s_delay_alu instid0(SALU_CYCLE_1) | instskip(NEXT) | instid1(VALU_DEP_2)
	v_cmp_lt_i64_e64 s3, s[6:7], 1
	v_cmp_gt_i64_e64 s2, s[16:17], v[0:1]
	s_delay_alu instid0(VALU_DEP_2) | instskip(NEXT) | instid1(VALU_DEP_1)
	s_and_b32 vcc_lo, exec_lo, s3
	v_cndmask_b32_e64 v3, s15, 0, s2
	v_cndmask_b32_e64 v2, s14, 0, s2
	s_cbranch_vccnz .LBB3_5
; %bb.1:
	s_clause 0x2
	s_load_b64 s[10:11], s[0:1], 0x50
	s_load_b64 s[14:15], s[0:1], 0x80
	;; [unrolled: 1-line block ×3, first 2 shown]
	v_add_co_u32 v4, vcc_lo, s4, v0
	v_add_co_ci_u32_e32 v5, vcc_lo, s5, v1, vcc_lo
	s_delay_alu instid0(VALU_DEP_1)
	v_lshlrev_b64 v[6:7], 3, v[4:5]
	s_waitcnt lgkmcnt(0)
	s_mul_i32 s3, s8, s11
	s_mul_hi_u32 s16, s8, s10
	s_mul_i32 s9, s9, s10
	s_add_i32 s3, s16, s3
	s_mul_i32 s8, s8, s10
	s_add_i32 s9, s3, s9
	v_add_co_u32 v4, vcc_lo, s14, v6
	s_lshl_b64 s[8:9], s[8:9], 3
	v_add_co_ci_u32_e32 v5, vcc_lo, s15, v7, vcc_lo
	s_add_u32 s0, s0, s8
	s_addc_u32 s1, s1, s9
	v_add_co_u32 v6, vcc_lo, s0, v6
	v_add_co_ci_u32_e32 v7, vcc_lo, s1, v7, vcc_lo
	s_lshl_b64 s[0:1], s[10:11], 3
	s_mov_b64 s[8:9], 0
	s_branch .LBB3_3
	.p2align	6
.LBB3_2:                                ;   in Loop: Header=BB3_3 Depth=1
	s_or_b32 exec_lo, exec_lo, s3
	s_add_u32 s8, s8, 1
	s_addc_u32 s9, s9, 0
	v_add_co_u32 v6, vcc_lo, v6, s0
	v_cmp_lt_i64_e64 s3, s[8:9], s[6:7]
	v_add_co_ci_u32_e32 v7, vcc_lo, s1, v7, vcc_lo
	s_delay_alu instid0(VALU_DEP_2)
	s_and_b32 vcc_lo, exec_lo, s3
	s_cbranch_vccz .LBB3_5
.LBB3_3:                                ; =>This Inner Loop Header: Depth=1
	s_and_saveexec_b32 s3, s2
	s_cbranch_execz .LBB3_2
; %bb.4:                                ;   in Loop: Header=BB3_3 Depth=1
	global_load_b64 v[8:9], v[6:7], off
	global_load_b64 v[10:11], v[4:5], off
	s_waitcnt vmcnt(0)
	v_fma_f64 v[2:3], v[8:9], v[10:11], v[2:3]
	s_branch .LBB3_2
.LBB3_5:
	s_and_saveexec_b32 s0, s2
	s_cbranch_execz .LBB3_7
; %bb.6:
	v_lshlrev_b64 v[0:1], 3, v[0:1]
	s_lshl_b64 s[0:1], s[4:5], 3
	s_delay_alu instid0(SALU_CYCLE_1) | instskip(SKIP_1) | instid1(VALU_DEP_1)
	s_add_u32 s0, s0, s12
	s_addc_u32 s1, s1, s13
	v_add_co_u32 v0, vcc_lo, s0, v0
	s_delay_alu instid0(VALU_DEP_2)
	v_add_co_ci_u32_e32 v1, vcc_lo, s1, v1, vcc_lo
	global_store_b64 v[0:1], v[2:3], off
.LBB3_7:
	s_nop 0
	s_sendmsg sendmsg(MSG_DEALLOC_VGPRS)
	s_endpgm
	.section	.rodata,"a",@progbits
	.p2align	6, 0x0
	.amdhsa_kernel _ZN4RAJA8internal22HipKernelLauncherFixedILi256ENS0_8LoopDataIN4camp5tupleIJNS_4SpanINS_9Iterators16numeric_iteratorIllPlEElEESA_EEENS4_IJdEEENS3_9resources2v13HipEJZZN8rajaperf9polybench13POLYBENCH_MVT17runHipVariantImplILm256EEEvNSG_9VariantIDEENKUlvE_clEvEUlRdE0_ZZNSJ_ILm256EEEvSK_ENKSL_clEvEUlllSM_E0_ZZNSJ_ILm256EEEvSK_ENKSL_clEvEUllSM_E0_EEENS0_24HipStatementListExecutorISQ_NS3_4listIJNS_9statement3ForILl0ENS_6policy3hip11hip_indexerINS_17iteration_mapping6DirectELNS_23kernel_sync_requirementE0EJNS_3hip11IndexGlobalILNS_9named_dimE0ELi256ELi0EEEEEEJNST_6LambdaILl0EJNSS_IJNS0_9LambdaArgINS0_18lambda_arg_param_tELl0EEEEEEEEENSU_ILl1ENSV_10sequential8seq_execEJNS16_ILl1EJNSS_IJNS17_INS0_16lambda_arg_seg_tELl0EEENS17_IS1E_Ll1EEEEEES1A_EEEEEENS16_ILl2EJNSS_IJS1F_EEES1A_EEEEEEEEENS0_9LoopTypesINSS_IJvvEEES1P_EEEEEEvT0_
		.amdhsa_group_segment_fixed_size 0
		.amdhsa_private_segment_fixed_size 0
		.amdhsa_kernarg_size 232
		.amdhsa_user_sgpr_count 15
		.amdhsa_user_sgpr_dispatch_ptr 0
		.amdhsa_user_sgpr_queue_ptr 0
		.amdhsa_user_sgpr_kernarg_segment_ptr 1
		.amdhsa_user_sgpr_dispatch_id 0
		.amdhsa_user_sgpr_private_segment_size 0
		.amdhsa_wavefront_size32 1
		.amdhsa_uses_dynamic_stack 0
		.amdhsa_enable_private_segment 0
		.amdhsa_system_sgpr_workgroup_id_x 1
		.amdhsa_system_sgpr_workgroup_id_y 0
		.amdhsa_system_sgpr_workgroup_id_z 0
		.amdhsa_system_sgpr_workgroup_info 0
		.amdhsa_system_vgpr_workitem_id 0
		.amdhsa_next_free_vgpr 12
		.amdhsa_next_free_sgpr 18
		.amdhsa_reserve_vcc 1
		.amdhsa_float_round_mode_32 0
		.amdhsa_float_round_mode_16_64 0
		.amdhsa_float_denorm_mode_32 3
		.amdhsa_float_denorm_mode_16_64 3
		.amdhsa_dx10_clamp 1
		.amdhsa_ieee_mode 1
		.amdhsa_fp16_overflow 0
		.amdhsa_workgroup_processor_mode 1
		.amdhsa_memory_ordered 1
		.amdhsa_forward_progress 0
		.amdhsa_shared_vgpr_count 0
		.amdhsa_exception_fp_ieee_invalid_op 0
		.amdhsa_exception_fp_denorm_src 0
		.amdhsa_exception_fp_ieee_div_zero 0
		.amdhsa_exception_fp_ieee_overflow 0
		.amdhsa_exception_fp_ieee_underflow 0
		.amdhsa_exception_fp_ieee_inexact 0
		.amdhsa_exception_int_div_zero 0
	.end_amdhsa_kernel
	.section	.text._ZN4RAJA8internal22HipKernelLauncherFixedILi256ENS0_8LoopDataIN4camp5tupleIJNS_4SpanINS_9Iterators16numeric_iteratorIllPlEElEESA_EEENS4_IJdEEENS3_9resources2v13HipEJZZN8rajaperf9polybench13POLYBENCH_MVT17runHipVariantImplILm256EEEvNSG_9VariantIDEENKUlvE_clEvEUlRdE0_ZZNSJ_ILm256EEEvSK_ENKSL_clEvEUlllSM_E0_ZZNSJ_ILm256EEEvSK_ENKSL_clEvEUllSM_E0_EEENS0_24HipStatementListExecutorISQ_NS3_4listIJNS_9statement3ForILl0ENS_6policy3hip11hip_indexerINS_17iteration_mapping6DirectELNS_23kernel_sync_requirementE0EJNS_3hip11IndexGlobalILNS_9named_dimE0ELi256ELi0EEEEEEJNST_6LambdaILl0EJNSS_IJNS0_9LambdaArgINS0_18lambda_arg_param_tELl0EEEEEEEEENSU_ILl1ENSV_10sequential8seq_execEJNS16_ILl1EJNSS_IJNS17_INS0_16lambda_arg_seg_tELl0EEENS17_IS1E_Ll1EEEEEES1A_EEEEEENS16_ILl2EJNSS_IJS1F_EEES1A_EEEEEEEEENS0_9LoopTypesINSS_IJvvEEES1P_EEEEEEvT0_,"axG",@progbits,_ZN4RAJA8internal22HipKernelLauncherFixedILi256ENS0_8LoopDataIN4camp5tupleIJNS_4SpanINS_9Iterators16numeric_iteratorIllPlEElEESA_EEENS4_IJdEEENS3_9resources2v13HipEJZZN8rajaperf9polybench13POLYBENCH_MVT17runHipVariantImplILm256EEEvNSG_9VariantIDEENKUlvE_clEvEUlRdE0_ZZNSJ_ILm256EEEvSK_ENKSL_clEvEUlllSM_E0_ZZNSJ_ILm256EEEvSK_ENKSL_clEvEUllSM_E0_EEENS0_24HipStatementListExecutorISQ_NS3_4listIJNS_9statement3ForILl0ENS_6policy3hip11hip_indexerINS_17iteration_mapping6DirectELNS_23kernel_sync_requirementE0EJNS_3hip11IndexGlobalILNS_9named_dimE0ELi256ELi0EEEEEEJNST_6LambdaILl0EJNSS_IJNS0_9LambdaArgINS0_18lambda_arg_param_tELl0EEEEEEEEENSU_ILl1ENSV_10sequential8seq_execEJNS16_ILl1EJNSS_IJNS17_INS0_16lambda_arg_seg_tELl0EEENS17_IS1E_Ll1EEEEEES1A_EEEEEENS16_ILl2EJNSS_IJS1F_EEES1A_EEEEEEEEENS0_9LoopTypesINSS_IJvvEEES1P_EEEEEEvT0_,comdat
.Lfunc_end3:
	.size	_ZN4RAJA8internal22HipKernelLauncherFixedILi256ENS0_8LoopDataIN4camp5tupleIJNS_4SpanINS_9Iterators16numeric_iteratorIllPlEElEESA_EEENS4_IJdEEENS3_9resources2v13HipEJZZN8rajaperf9polybench13POLYBENCH_MVT17runHipVariantImplILm256EEEvNSG_9VariantIDEENKUlvE_clEvEUlRdE0_ZZNSJ_ILm256EEEvSK_ENKSL_clEvEUlllSM_E0_ZZNSJ_ILm256EEEvSK_ENKSL_clEvEUllSM_E0_EEENS0_24HipStatementListExecutorISQ_NS3_4listIJNS_9statement3ForILl0ENS_6policy3hip11hip_indexerINS_17iteration_mapping6DirectELNS_23kernel_sync_requirementE0EJNS_3hip11IndexGlobalILNS_9named_dimE0ELi256ELi0EEEEEEJNST_6LambdaILl0EJNSS_IJNS0_9LambdaArgINS0_18lambda_arg_param_tELl0EEEEEEEEENSU_ILl1ENSV_10sequential8seq_execEJNS16_ILl1EJNSS_IJNS17_INS0_16lambda_arg_seg_tELl0EEENS17_IS1E_Ll1EEEEEES1A_EEEEEENS16_ILl2EJNSS_IJS1F_EEES1A_EEEEEEEEENS0_9LoopTypesINSS_IJvvEEES1P_EEEEEEvT0_, .Lfunc_end3-_ZN4RAJA8internal22HipKernelLauncherFixedILi256ENS0_8LoopDataIN4camp5tupleIJNS_4SpanINS_9Iterators16numeric_iteratorIllPlEElEESA_EEENS4_IJdEEENS3_9resources2v13HipEJZZN8rajaperf9polybench13POLYBENCH_MVT17runHipVariantImplILm256EEEvNSG_9VariantIDEENKUlvE_clEvEUlRdE0_ZZNSJ_ILm256EEEvSK_ENKSL_clEvEUlllSM_E0_ZZNSJ_ILm256EEEvSK_ENKSL_clEvEUllSM_E0_EEENS0_24HipStatementListExecutorISQ_NS3_4listIJNS_9statement3ForILl0ENS_6policy3hip11hip_indexerINS_17iteration_mapping6DirectELNS_23kernel_sync_requirementE0EJNS_3hip11IndexGlobalILNS_9named_dimE0ELi256ELi0EEEEEEJNST_6LambdaILl0EJNSS_IJNS0_9LambdaArgINS0_18lambda_arg_param_tELl0EEEEEEEEENSU_ILl1ENSV_10sequential8seq_execEJNS16_ILl1EJNSS_IJNS17_INS0_16lambda_arg_seg_tELl0EEENS17_IS1E_Ll1EEEEEES1A_EEEEEENS16_ILl2EJNSS_IJS1F_EEES1A_EEEEEEEEENS0_9LoopTypesINSS_IJvvEEES1P_EEEEEEvT0_
                                        ; -- End function
	.section	.AMDGPU.csdata,"",@progbits
; Kernel info:
; codeLenInByte = 396
; NumSgprs: 20
; NumVgprs: 12
; ScratchSize: 0
; MemoryBound: 1
; FloatMode: 240
; IeeeMode: 1
; LDSByteSize: 0 bytes/workgroup (compile time only)
; SGPRBlocks: 2
; VGPRBlocks: 1
; NumSGPRsForWavesPerEU: 20
; NumVGPRsForWavesPerEU: 12
; Occupancy: 16
; WaveLimiterHint : 0
; COMPUTE_PGM_RSRC2:SCRATCH_EN: 0
; COMPUTE_PGM_RSRC2:USER_SGPR: 15
; COMPUTE_PGM_RSRC2:TRAP_HANDLER: 0
; COMPUTE_PGM_RSRC2:TGID_X_EN: 1
; COMPUTE_PGM_RSRC2:TGID_Y_EN: 0
; COMPUTE_PGM_RSRC2:TGID_Z_EN: 0
; COMPUTE_PGM_RSRC2:TIDIG_COMP_CNT: 0
	.text
	.p2alignl 7, 3214868480
	.fill 96, 4, 3214868480
	.type	__hip_cuid_2996d00810f5a869,@object ; @__hip_cuid_2996d00810f5a869
	.section	.bss,"aw",@nobits
	.globl	__hip_cuid_2996d00810f5a869
__hip_cuid_2996d00810f5a869:
	.byte	0                               ; 0x0
	.size	__hip_cuid_2996d00810f5a869, 1

	.ident	"AMD clang version 19.0.0git (https://github.com/RadeonOpenCompute/llvm-project roc-6.4.0 25133 c7fe45cf4b819c5991fe208aaa96edf142730f1d)"
	.section	".note.GNU-stack","",@progbits
	.addrsig
	.addrsig_sym __hip_cuid_2996d00810f5a869
	.amdgpu_metadata
---
amdhsa.kernels:
  - .args:
      - .address_space:  global
        .offset:         0
        .size:           8
        .value_kind:     global_buffer
      - .address_space:  global
        .offset:         8
        .size:           8
        .value_kind:     global_buffer
      - .address_space:  global
        .offset:         16
        .size:           8
        .value_kind:     global_buffer
      - .offset:         24
        .size:           8
        .value_kind:     by_value
    .group_segment_fixed_size: 0
    .kernarg_segment_align: 8
    .kernarg_segment_size: 32
    .language:       OpenCL C
    .language_version:
      - 2
      - 0
    .max_flat_workgroup_size: 256
    .name:           _ZN8rajaperf9polybench10poly_mvt_1ILm256EEEvPdS2_S2_l
    .private_segment_fixed_size: 0
    .sgpr_count:     18
    .sgpr_spill_count: 0
    .symbol:         _ZN8rajaperf9polybench10poly_mvt_1ILm256EEEvPdS2_S2_l.kd
    .uniform_work_group_size: 1
    .uses_dynamic_stack: false
    .vgpr_count:     8
    .vgpr_spill_count: 0
    .wavefront_size: 32
    .workgroup_processor_mode: 1
  - .args:
      - .address_space:  global
        .offset:         0
        .size:           8
        .value_kind:     global_buffer
      - .address_space:  global
        .offset:         8
        .size:           8
        .value_kind:     global_buffer
      - .address_space:  global
        .offset:         16
        .size:           8
        .value_kind:     global_buffer
      - .offset:         24
        .size:           8
        .value_kind:     by_value
    .group_segment_fixed_size: 0
    .kernarg_segment_align: 8
    .kernarg_segment_size: 32
    .language:       OpenCL C
    .language_version:
      - 2
      - 0
    .max_flat_workgroup_size: 256
    .name:           _ZN8rajaperf9polybench10poly_mvt_2ILm256EEEvPdS2_S2_l
    .private_segment_fixed_size: 0
    .sgpr_count:     18
    .sgpr_spill_count: 0
    .symbol:         _ZN8rajaperf9polybench10poly_mvt_2ILm256EEEvPdS2_S2_l.kd
    .uniform_work_group_size: 1
    .uses_dynamic_stack: false
    .vgpr_count:     10
    .vgpr_spill_count: 0
    .wavefront_size: 32
    .workgroup_processor_mode: 1
  - .args:
      - .offset:         0
        .size:           232
        .value_kind:     by_value
    .group_segment_fixed_size: 0
    .kernarg_segment_align: 8
    .kernarg_segment_size: 232
    .language:       OpenCL C
    .language_version:
      - 2
      - 0
    .max_flat_workgroup_size: 256
    .name:           _ZN4RAJA8internal22HipKernelLauncherFixedILi256ENS0_8LoopDataIN4camp5tupleIJNS_4SpanINS_9Iterators16numeric_iteratorIllPlEElEESA_EEENS4_IJdEEENS3_9resources2v13HipEJZZN8rajaperf9polybench13POLYBENCH_MVT17runHipVariantImplILm256EEEvNSG_9VariantIDEENKUlvE_clEvEUlRdE_ZZNSJ_ILm256EEEvSK_ENKSL_clEvEUlllSM_E_ZZNSJ_ILm256EEEvSK_ENKSL_clEvEUllSM_E_EEENS0_24HipStatementListExecutorISQ_NS3_4listIJNS_9statement3ForILl0ENS_6policy3hip11hip_indexerINS_17iteration_mapping6DirectELNS_23kernel_sync_requirementE0EJNS_3hip11IndexGlobalILNS_9named_dimE0ELi256ELi0EEEEEEJNST_6LambdaILl0EJNSS_IJNS0_9LambdaArgINS0_18lambda_arg_param_tELl0EEEEEEEEENSU_ILl1ENSV_10sequential8seq_execEJNS16_ILl1EJNSS_IJNS17_INS0_16lambda_arg_seg_tELl0EEENS17_IS1E_Ll1EEEEEES1A_EEEEEENS16_ILl2EJNSS_IJS1F_EEES1A_EEEEEEEEENS0_9LoopTypesINSS_IJvvEEES1P_EEEEEEvT0_
    .private_segment_fixed_size: 0
    .sgpr_count:     20
    .sgpr_spill_count: 0
    .symbol:         _ZN4RAJA8internal22HipKernelLauncherFixedILi256ENS0_8LoopDataIN4camp5tupleIJNS_4SpanINS_9Iterators16numeric_iteratorIllPlEElEESA_EEENS4_IJdEEENS3_9resources2v13HipEJZZN8rajaperf9polybench13POLYBENCH_MVT17runHipVariantImplILm256EEEvNSG_9VariantIDEENKUlvE_clEvEUlRdE_ZZNSJ_ILm256EEEvSK_ENKSL_clEvEUlllSM_E_ZZNSJ_ILm256EEEvSK_ENKSL_clEvEUllSM_E_EEENS0_24HipStatementListExecutorISQ_NS3_4listIJNS_9statement3ForILl0ENS_6policy3hip11hip_indexerINS_17iteration_mapping6DirectELNS_23kernel_sync_requirementE0EJNS_3hip11IndexGlobalILNS_9named_dimE0ELi256ELi0EEEEEEJNST_6LambdaILl0EJNSS_IJNS0_9LambdaArgINS0_18lambda_arg_param_tELl0EEEEEEEEENSU_ILl1ENSV_10sequential8seq_execEJNS16_ILl1EJNSS_IJNS17_INS0_16lambda_arg_seg_tELl0EEENS17_IS1E_Ll1EEEEEES1A_EEEEEENS16_ILl2EJNSS_IJS1F_EEES1A_EEEEEEEEENS0_9LoopTypesINSS_IJvvEEES1P_EEEEEEvT0_.kd
    .uniform_work_group_size: 1
    .uses_dynamic_stack: false
    .vgpr_count:     9
    .vgpr_spill_count: 0
    .wavefront_size: 32
    .workgroup_processor_mode: 1
  - .args:
      - .offset:         0
        .size:           232
        .value_kind:     by_value
    .group_segment_fixed_size: 0
    .kernarg_segment_align: 8
    .kernarg_segment_size: 232
    .language:       OpenCL C
    .language_version:
      - 2
      - 0
    .max_flat_workgroup_size: 256
    .name:           _ZN4RAJA8internal22HipKernelLauncherFixedILi256ENS0_8LoopDataIN4camp5tupleIJNS_4SpanINS_9Iterators16numeric_iteratorIllPlEElEESA_EEENS4_IJdEEENS3_9resources2v13HipEJZZN8rajaperf9polybench13POLYBENCH_MVT17runHipVariantImplILm256EEEvNSG_9VariantIDEENKUlvE_clEvEUlRdE0_ZZNSJ_ILm256EEEvSK_ENKSL_clEvEUlllSM_E0_ZZNSJ_ILm256EEEvSK_ENKSL_clEvEUllSM_E0_EEENS0_24HipStatementListExecutorISQ_NS3_4listIJNS_9statement3ForILl0ENS_6policy3hip11hip_indexerINS_17iteration_mapping6DirectELNS_23kernel_sync_requirementE0EJNS_3hip11IndexGlobalILNS_9named_dimE0ELi256ELi0EEEEEEJNST_6LambdaILl0EJNSS_IJNS0_9LambdaArgINS0_18lambda_arg_param_tELl0EEEEEEEEENSU_ILl1ENSV_10sequential8seq_execEJNS16_ILl1EJNSS_IJNS17_INS0_16lambda_arg_seg_tELl0EEENS17_IS1E_Ll1EEEEEES1A_EEEEEENS16_ILl2EJNSS_IJS1F_EEES1A_EEEEEEEEENS0_9LoopTypesINSS_IJvvEEES1P_EEEEEEvT0_
    .private_segment_fixed_size: 0
    .sgpr_count:     20
    .sgpr_spill_count: 0
    .symbol:         _ZN4RAJA8internal22HipKernelLauncherFixedILi256ENS0_8LoopDataIN4camp5tupleIJNS_4SpanINS_9Iterators16numeric_iteratorIllPlEElEESA_EEENS4_IJdEEENS3_9resources2v13HipEJZZN8rajaperf9polybench13POLYBENCH_MVT17runHipVariantImplILm256EEEvNSG_9VariantIDEENKUlvE_clEvEUlRdE0_ZZNSJ_ILm256EEEvSK_ENKSL_clEvEUlllSM_E0_ZZNSJ_ILm256EEEvSK_ENKSL_clEvEUllSM_E0_EEENS0_24HipStatementListExecutorISQ_NS3_4listIJNS_9statement3ForILl0ENS_6policy3hip11hip_indexerINS_17iteration_mapping6DirectELNS_23kernel_sync_requirementE0EJNS_3hip11IndexGlobalILNS_9named_dimE0ELi256ELi0EEEEEEJNST_6LambdaILl0EJNSS_IJNS0_9LambdaArgINS0_18lambda_arg_param_tELl0EEEEEEEEENSU_ILl1ENSV_10sequential8seq_execEJNS16_ILl1EJNSS_IJNS17_INS0_16lambda_arg_seg_tELl0EEENS17_IS1E_Ll1EEEEEES1A_EEEEEENS16_ILl2EJNSS_IJS1F_EEES1A_EEEEEEEEENS0_9LoopTypesINSS_IJvvEEES1P_EEEEEEvT0_.kd
    .uniform_work_group_size: 1
    .uses_dynamic_stack: false
    .vgpr_count:     12
    .vgpr_spill_count: 0
    .wavefront_size: 32
    .workgroup_processor_mode: 1
amdhsa.target:   amdgcn-amd-amdhsa--gfx1100
amdhsa.version:
  - 1
  - 2
...

	.end_amdgpu_metadata
